;; amdgpu-corpus repo=ROCm/rocFFT kind=compiled arch=gfx906 opt=O3
	.text
	.amdgcn_target "amdgcn-amd-amdhsa--gfx906"
	.amdhsa_code_object_version 6
	.protected	fft_rtc_back_len1452_factors_11_3_11_4_wgs_132_tpt_132_halfLds_sp_op_CI_CI_unitstride_sbrr_C2R_dirReg ; -- Begin function fft_rtc_back_len1452_factors_11_3_11_4_wgs_132_tpt_132_halfLds_sp_op_CI_CI_unitstride_sbrr_C2R_dirReg
	.globl	fft_rtc_back_len1452_factors_11_3_11_4_wgs_132_tpt_132_halfLds_sp_op_CI_CI_unitstride_sbrr_C2R_dirReg
	.p2align	8
	.type	fft_rtc_back_len1452_factors_11_3_11_4_wgs_132_tpt_132_halfLds_sp_op_CI_CI_unitstride_sbrr_C2R_dirReg,@function
fft_rtc_back_len1452_factors_11_3_11_4_wgs_132_tpt_132_halfLds_sp_op_CI_CI_unitstride_sbrr_C2R_dirReg: ; @fft_rtc_back_len1452_factors_11_3_11_4_wgs_132_tpt_132_halfLds_sp_op_CI_CI_unitstride_sbrr_C2R_dirReg
; %bb.0:
	s_load_dwordx4 s[8:11], s[4:5], 0x58
	s_load_dwordx4 s[12:15], s[4:5], 0x0
	;; [unrolled: 1-line block ×3, first 2 shown]
	v_mul_u32_u24_e32 v1, 0x1f1, v0
	v_add_u32_sdwa v5, s6, v1 dst_sel:DWORD dst_unused:UNUSED_PAD src0_sel:DWORD src1_sel:WORD_1
	v_mov_b32_e32 v3, 0
	s_waitcnt lgkmcnt(0)
	v_cmp_lt_u64_e64 s[0:1], s[14:15], 2
	v_mov_b32_e32 v1, 0
	v_mov_b32_e32 v6, v3
	s_and_b64 vcc, exec, s[0:1]
	v_mov_b32_e32 v2, 0
	s_cbranch_vccnz .LBB0_8
; %bb.1:
	s_load_dwordx2 s[0:1], s[4:5], 0x10
	s_add_u32 s2, s18, 8
	s_addc_u32 s3, s19, 0
	s_add_u32 s6, s16, 8
	v_mov_b32_e32 v1, 0
	s_addc_u32 s7, s17, 0
	v_mov_b32_e32 v2, 0
	s_waitcnt lgkmcnt(0)
	s_add_u32 s20, s0, 8
	v_mov_b32_e32 v17, v2
	s_addc_u32 s21, s1, 0
	s_mov_b64 s[22:23], 1
	v_mov_b32_e32 v16, v1
.LBB0_2:                                ; =>This Inner Loop Header: Depth=1
	s_load_dwordx2 s[24:25], s[20:21], 0x0
                                        ; implicit-def: $vgpr18_vgpr19
	s_waitcnt lgkmcnt(0)
	v_or_b32_e32 v4, s25, v6
	v_cmp_ne_u64_e32 vcc, 0, v[3:4]
	s_and_saveexec_b64 s[0:1], vcc
	s_xor_b64 s[26:27], exec, s[0:1]
	s_cbranch_execz .LBB0_4
; %bb.3:                                ;   in Loop: Header=BB0_2 Depth=1
	v_cvt_f32_u32_e32 v4, s24
	v_cvt_f32_u32_e32 v7, s25
	s_sub_u32 s0, 0, s24
	s_subb_u32 s1, 0, s25
	v_mac_f32_e32 v4, 0x4f800000, v7
	v_rcp_f32_e32 v4, v4
	v_mul_f32_e32 v4, 0x5f7ffffc, v4
	v_mul_f32_e32 v7, 0x2f800000, v4
	v_trunc_f32_e32 v7, v7
	v_mac_f32_e32 v4, 0xcf800000, v7
	v_cvt_u32_f32_e32 v7, v7
	v_cvt_u32_f32_e32 v4, v4
	v_mul_lo_u32 v8, s0, v7
	v_mul_hi_u32 v9, s0, v4
	v_mul_lo_u32 v11, s1, v4
	v_mul_lo_u32 v10, s0, v4
	v_add_u32_e32 v8, v9, v8
	v_add_u32_e32 v8, v8, v11
	v_mul_hi_u32 v9, v4, v10
	v_mul_lo_u32 v11, v4, v8
	v_mul_hi_u32 v13, v4, v8
	v_mul_hi_u32 v12, v7, v10
	v_mul_lo_u32 v10, v7, v10
	v_mul_hi_u32 v14, v7, v8
	v_add_co_u32_e32 v9, vcc, v9, v11
	v_addc_co_u32_e32 v11, vcc, 0, v13, vcc
	v_mul_lo_u32 v8, v7, v8
	v_add_co_u32_e32 v9, vcc, v9, v10
	v_addc_co_u32_e32 v9, vcc, v11, v12, vcc
	v_addc_co_u32_e32 v10, vcc, 0, v14, vcc
	v_add_co_u32_e32 v8, vcc, v9, v8
	v_addc_co_u32_e32 v9, vcc, 0, v10, vcc
	v_add_co_u32_e32 v4, vcc, v4, v8
	v_addc_co_u32_e32 v7, vcc, v7, v9, vcc
	v_mul_lo_u32 v8, s0, v7
	v_mul_hi_u32 v9, s0, v4
	v_mul_lo_u32 v10, s1, v4
	v_mul_lo_u32 v11, s0, v4
	v_add_u32_e32 v8, v9, v8
	v_add_u32_e32 v8, v8, v10
	v_mul_lo_u32 v12, v4, v8
	v_mul_hi_u32 v13, v4, v11
	v_mul_hi_u32 v14, v4, v8
	v_mul_hi_u32 v10, v7, v11
	v_mul_lo_u32 v11, v7, v11
	v_mul_hi_u32 v9, v7, v8
	v_add_co_u32_e32 v12, vcc, v13, v12
	v_addc_co_u32_e32 v13, vcc, 0, v14, vcc
	v_mul_lo_u32 v8, v7, v8
	v_add_co_u32_e32 v11, vcc, v12, v11
	v_addc_co_u32_e32 v10, vcc, v13, v10, vcc
	v_addc_co_u32_e32 v9, vcc, 0, v9, vcc
	v_add_co_u32_e32 v8, vcc, v10, v8
	v_addc_co_u32_e32 v9, vcc, 0, v9, vcc
	v_add_co_u32_e32 v4, vcc, v4, v8
	v_addc_co_u32_e32 v9, vcc, v7, v9, vcc
	v_mad_u64_u32 v[7:8], s[0:1], v5, v9, 0
	v_mul_hi_u32 v10, v5, v4
	v_add_co_u32_e32 v11, vcc, v10, v7
	v_addc_co_u32_e32 v12, vcc, 0, v8, vcc
	v_mad_u64_u32 v[7:8], s[0:1], v6, v4, 0
	v_mad_u64_u32 v[9:10], s[0:1], v6, v9, 0
	v_add_co_u32_e32 v4, vcc, v11, v7
	v_addc_co_u32_e32 v4, vcc, v12, v8, vcc
	v_addc_co_u32_e32 v7, vcc, 0, v10, vcc
	v_add_co_u32_e32 v4, vcc, v4, v9
	v_addc_co_u32_e32 v9, vcc, 0, v7, vcc
	v_mul_lo_u32 v10, s25, v4
	v_mul_lo_u32 v11, s24, v9
	v_mad_u64_u32 v[7:8], s[0:1], s24, v4, 0
	v_add3_u32 v8, v8, v11, v10
	v_sub_u32_e32 v10, v6, v8
	v_mov_b32_e32 v11, s25
	v_sub_co_u32_e32 v7, vcc, v5, v7
	v_subb_co_u32_e64 v10, s[0:1], v10, v11, vcc
	v_subrev_co_u32_e64 v11, s[0:1], s24, v7
	v_subbrev_co_u32_e64 v10, s[0:1], 0, v10, s[0:1]
	v_cmp_le_u32_e64 s[0:1], s25, v10
	v_cndmask_b32_e64 v12, 0, -1, s[0:1]
	v_cmp_le_u32_e64 s[0:1], s24, v11
	v_cndmask_b32_e64 v11, 0, -1, s[0:1]
	v_cmp_eq_u32_e64 s[0:1], s25, v10
	v_cndmask_b32_e64 v10, v12, v11, s[0:1]
	v_add_co_u32_e64 v11, s[0:1], 2, v4
	v_addc_co_u32_e64 v12, s[0:1], 0, v9, s[0:1]
	v_add_co_u32_e64 v13, s[0:1], 1, v4
	v_addc_co_u32_e64 v14, s[0:1], 0, v9, s[0:1]
	v_subb_co_u32_e32 v8, vcc, v6, v8, vcc
	v_cmp_ne_u32_e64 s[0:1], 0, v10
	v_cmp_le_u32_e32 vcc, s25, v8
	v_cndmask_b32_e64 v10, v14, v12, s[0:1]
	v_cndmask_b32_e64 v12, 0, -1, vcc
	v_cmp_le_u32_e32 vcc, s24, v7
	v_cndmask_b32_e64 v7, 0, -1, vcc
	v_cmp_eq_u32_e32 vcc, s25, v8
	v_cndmask_b32_e32 v7, v12, v7, vcc
	v_cmp_ne_u32_e32 vcc, 0, v7
	v_cndmask_b32_e64 v7, v13, v11, s[0:1]
	v_cndmask_b32_e32 v19, v9, v10, vcc
	v_cndmask_b32_e32 v18, v4, v7, vcc
.LBB0_4:                                ;   in Loop: Header=BB0_2 Depth=1
	s_andn2_saveexec_b64 s[0:1], s[26:27]
	s_cbranch_execz .LBB0_6
; %bb.5:                                ;   in Loop: Header=BB0_2 Depth=1
	v_cvt_f32_u32_e32 v4, s24
	s_sub_i32 s26, 0, s24
	v_mov_b32_e32 v19, v3
	v_rcp_iflag_f32_e32 v4, v4
	v_mul_f32_e32 v4, 0x4f7ffffe, v4
	v_cvt_u32_f32_e32 v4, v4
	v_mul_lo_u32 v7, s26, v4
	v_mul_hi_u32 v7, v4, v7
	v_add_u32_e32 v4, v4, v7
	v_mul_hi_u32 v4, v5, v4
	v_mul_lo_u32 v7, v4, s24
	v_add_u32_e32 v8, 1, v4
	v_sub_u32_e32 v7, v5, v7
	v_subrev_u32_e32 v9, s24, v7
	v_cmp_le_u32_e32 vcc, s24, v7
	v_cndmask_b32_e32 v7, v7, v9, vcc
	v_cndmask_b32_e32 v4, v4, v8, vcc
	v_add_u32_e32 v8, 1, v4
	v_cmp_le_u32_e32 vcc, s24, v7
	v_cndmask_b32_e32 v18, v4, v8, vcc
.LBB0_6:                                ;   in Loop: Header=BB0_2 Depth=1
	s_or_b64 exec, exec, s[0:1]
	v_mul_lo_u32 v4, v19, s24
	v_mul_lo_u32 v9, v18, s25
	v_mad_u64_u32 v[7:8], s[0:1], v18, s24, 0
	s_load_dwordx2 s[0:1], s[6:7], 0x0
	s_load_dwordx2 s[24:25], s[2:3], 0x0
	v_add3_u32 v4, v8, v9, v4
	v_sub_co_u32_e32 v5, vcc, v5, v7
	v_subb_co_u32_e32 v4, vcc, v6, v4, vcc
	s_waitcnt lgkmcnt(0)
	v_mul_lo_u32 v6, s0, v4
	v_mul_lo_u32 v7, s1, v5
	v_mad_u64_u32 v[1:2], s[0:1], s0, v5, v[1:2]
	v_mul_lo_u32 v4, s24, v4
	v_mul_lo_u32 v8, s25, v5
	v_mad_u64_u32 v[16:17], s[0:1], s24, v5, v[16:17]
	s_add_u32 s22, s22, 1
	s_addc_u32 s23, s23, 0
	s_add_u32 s2, s2, 8
	v_add3_u32 v17, v8, v17, v4
	s_addc_u32 s3, s3, 0
	v_mov_b32_e32 v4, s14
	s_add_u32 s6, s6, 8
	v_mov_b32_e32 v5, s15
	s_addc_u32 s7, s7, 0
	v_cmp_ge_u64_e32 vcc, s[22:23], v[4:5]
	s_add_u32 s20, s20, 8
	v_add3_u32 v2, v7, v2, v6
	s_addc_u32 s21, s21, 0
	s_cbranch_vccnz .LBB0_9
; %bb.7:                                ;   in Loop: Header=BB0_2 Depth=1
	v_mov_b32_e32 v5, v18
	v_mov_b32_e32 v6, v19
	s_branch .LBB0_2
.LBB0_8:
	v_mov_b32_e32 v17, v2
	v_mov_b32_e32 v19, v6
	;; [unrolled: 1-line block ×4, first 2 shown]
.LBB0_9:
	s_load_dwordx2 s[2:3], s[4:5], 0x28
	s_lshl_b64 s[6:7], s[14:15], 3
	s_add_u32 s4, s18, s6
	s_addc_u32 s5, s19, s7
                                        ; implicit-def: $vgpr20
	s_waitcnt lgkmcnt(0)
	v_cmp_gt_u64_e64 s[0:1], s[2:3], v[18:19]
	v_cmp_le_u64_e32 vcc, s[2:3], v[18:19]
	s_and_saveexec_b64 s[2:3], vcc
	s_xor_b64 s[2:3], exec, s[2:3]
; %bb.10:
	s_mov_b32 s14, 0x1f07c20
	v_mul_hi_u32 v1, v0, s14
	v_mul_u32_u24_e32 v1, 0x84, v1
	v_sub_u32_e32 v20, v0, v1
                                        ; implicit-def: $vgpr0
                                        ; implicit-def: $vgpr1_vgpr2
; %bb.11:
	s_or_saveexec_b64 s[2:3], s[2:3]
	s_load_dwordx2 s[4:5], s[4:5], 0x0
	s_xor_b64 exec, exec, s[2:3]
	s_cbranch_execz .LBB0_15
; %bb.12:
	s_add_u32 s6, s16, s6
	s_addc_u32 s7, s17, s7
	s_load_dwordx2 s[6:7], s[6:7], 0x0
	s_mov_b32 s14, 0x1f07c20
	v_mul_hi_u32 v5, v0, s14
	v_lshlrev_b64 v[1:2], 3, v[1:2]
	s_waitcnt lgkmcnt(0)
	v_mul_lo_u32 v6, s7, v18
	v_mul_lo_u32 v7, s6, v19
	v_mad_u64_u32 v[3:4], s[6:7], s6, v18, 0
	v_mul_u32_u24_e32 v5, 0x84, v5
	v_sub_u32_e32 v20, v0, v5
	v_add3_u32 v4, v4, v7, v6
	v_lshlrev_b64 v[3:4], 3, v[3:4]
	v_mov_b32_e32 v0, s9
	v_add_co_u32_e32 v3, vcc, s8, v3
	v_addc_co_u32_e32 v0, vcc, v0, v4, vcc
	v_add_co_u32_e32 v1, vcc, v3, v1
	v_addc_co_u32_e32 v0, vcc, v0, v2, vcc
	v_lshlrev_b32_e32 v31, 3, v20
	v_add_co_u32_e32 v2, vcc, v1, v31
	v_addc_co_u32_e32 v3, vcc, 0, v0, vcc
	s_movk_i32 s6, 0x1000
	v_add_co_u32_e32 v12, vcc, s6, v2
	v_addc_co_u32_e32 v13, vcc, 0, v3, vcc
	global_load_dwordx2 v[4:5], v[2:3], off offset:3168
	global_load_dwordx2 v[6:7], v[2:3], off
	global_load_dwordx2 v[8:9], v[2:3], off offset:2112
	global_load_dwordx2 v[10:11], v[2:3], off offset:1056
	v_add_co_u32_e32 v2, vcc, 0x2000, v2
	v_addc_co_u32_e32 v3, vcc, 0, v3, vcc
	global_load_dwordx2 v[14:15], v[12:13], off offset:128
	global_load_dwordx2 v[21:22], v[12:13], off offset:1184
	;; [unrolled: 1-line block ×4, first 2 shown]
	s_nop 0
	global_load_dwordx2 v[12:13], v[2:3], off offset:256
	global_load_dwordx2 v[27:28], v[2:3], off offset:1312
	;; [unrolled: 1-line block ×3, first 2 shown]
	s_movk_i32 s6, 0x83
	v_add_u32_e32 v2, 0, v31
	v_add_u32_e32 v3, 0x800, v2
	v_cmp_eq_u32_e32 vcc, s6, v20
	v_add_u32_e32 v31, 0x1000, v2
	v_add_u32_e32 v32, 0x1800, v2
	;; [unrolled: 1-line block ×3, first 2 shown]
	s_waitcnt vmcnt(8)
	ds_write2_b64 v3, v[8:9], v[4:5] offset0:8 offset1:140
	s_waitcnt vmcnt(7)
	ds_write2_b64 v2, v[6:7], v[10:11] offset1:132
	s_waitcnt vmcnt(5)
	ds_write2_b64 v31, v[14:15], v[21:22] offset0:16 offset1:148
	s_waitcnt vmcnt(3)
	ds_write2_b64 v32, v[23:24], v[25:26] offset0:24 offset1:156
	;; [unrolled: 2-line block ×3, first 2 shown]
	s_waitcnt vmcnt(0)
	ds_write_b64 v2, v[29:30] offset:10560
	s_and_saveexec_b64 s[6:7], vcc
	s_cbranch_execz .LBB0_14
; %bb.13:
	v_add_co_u32_e32 v1, vcc, 0x2000, v1
	v_addc_co_u32_e32 v2, vcc, 0, v0, vcc
	global_load_dwordx2 v[0:1], v[1:2], off offset:3424
	v_mov_b32_e32 v2, 0
	v_mov_b32_e32 v20, 0x83
	s_waitcnt vmcnt(0)
	ds_write_b64 v2, v[0:1] offset:11616
.LBB0_14:
	s_or_b64 exec, exec, s[6:7]
.LBB0_15:
	s_or_b64 exec, exec, s[2:3]
	v_lshlrev_b32_e32 v0, 3, v20
	v_add_u32_e32 v31, 0, v0
	s_waitcnt lgkmcnt(0)
	s_barrier
	v_sub_u32_e32 v4, 0, v0
	ds_read_b32 v5, v31
	ds_read_b32 v6, v4 offset:11616
	s_add_u32 s6, s12, 0x2d08
	s_addc_u32 s7, s13, 0
	v_cmp_ne_u32_e32 vcc, 0, v20
                                        ; implicit-def: $vgpr0_vgpr1
	s_waitcnt lgkmcnt(0)
	v_add_f32_e32 v2, v6, v5
	v_sub_f32_e32 v3, v5, v6
	s_and_saveexec_b64 s[2:3], vcc
	s_xor_b64 s[2:3], exec, s[2:3]
	s_cbranch_execz .LBB0_17
; %bb.16:
	v_mov_b32_e32 v21, 0
	v_lshlrev_b64 v[0:1], 3, v[20:21]
	v_mov_b32_e32 v2, s7
	v_add_co_u32_e32 v0, vcc, s6, v0
	v_addc_co_u32_e32 v1, vcc, v2, v1, vcc
	global_load_dwordx2 v[0:1], v[0:1], off
	ds_read_b32 v2, v4 offset:11620
	ds_read_b32 v3, v31 offset:4
	v_add_f32_e32 v7, v6, v5
	v_sub_f32_e32 v8, v5, v6
	s_waitcnt lgkmcnt(0)
	v_add_f32_e32 v9, v2, v3
	v_sub_f32_e32 v2, v3, v2
	s_waitcnt vmcnt(0)
	v_fma_f32 v10, v8, v1, v7
	v_fma_f32 v3, v9, v1, v2
	v_fma_f32 v5, -v8, v1, v7
	v_fma_f32 v6, v9, v1, -v2
	v_fma_f32 v2, -v0, v9, v10
	v_fmac_f32_e32 v3, v8, v0
	v_fmac_f32_e32 v5, v0, v9
	;; [unrolled: 1-line block ×3, first 2 shown]
	v_mov_b32_e32 v0, v20
	ds_write_b64 v4, v[5:6] offset:11616
	v_mov_b32_e32 v1, v21
.LBB0_17:
	s_andn2_saveexec_b64 s[2:3], s[2:3]
	s_cbranch_execz .LBB0_19
; %bb.18:
	v_mov_b32_e32 v7, 0
	ds_read_b64 v[0:1], v7 offset:5808
	s_waitcnt lgkmcnt(0)
	v_add_f32_e32 v5, v0, v0
	v_mul_f32_e32 v6, -2.0, v1
	v_mov_b32_e32 v0, 0
	v_mov_b32_e32 v1, 0
	ds_write_b64 v7, v[5:6] offset:5808
.LBB0_19:
	s_or_b64 exec, exec, s[2:3]
	v_lshlrev_b64 v[0:1], 3, v[0:1]
	v_mov_b32_e32 v5, s7
	v_add_co_u32_e32 v0, vcc, s6, v0
	v_addc_co_u32_e32 v1, vcc, v5, v1, vcc
	global_load_dwordx2 v[5:6], v[0:1], off offset:1056
	global_load_dwordx2 v[7:8], v[0:1], off offset:2112
	;; [unrolled: 1-line block ×3, first 2 shown]
	s_movk_i32 s2, 0x1000
	v_add_co_u32_e32 v11, vcc, s2, v0
	v_addc_co_u32_e32 v12, vcc, 0, v1, vcc
	global_load_dwordx2 v[11:12], v[11:12], off offset:128
	ds_write_b64 v31, v[2:3]
	ds_read_b64 v[2:3], v31 offset:1056
	ds_read_b64 v[13:14], v4 offset:10560
	s_movk_i32 s2, 0x42
	v_cmp_gt_u32_e32 vcc, s2, v20
	s_waitcnt lgkmcnt(0)
	v_add_f32_e32 v15, v2, v13
	v_add_f32_e32 v21, v14, v3
	v_sub_f32_e32 v22, v2, v13
	v_sub_f32_e32 v13, v3, v14
	s_waitcnt vmcnt(3)
	v_fma_f32 v23, v22, v6, v15
	v_fma_f32 v14, v21, v6, v13
	v_fma_f32 v2, -v22, v6, v15
	v_fma_f32 v3, v21, v6, -v13
	v_fma_f32 v13, -v5, v21, v23
	v_fmac_f32_e32 v14, v22, v5
	v_fmac_f32_e32 v2, v5, v21
	v_fmac_f32_e32 v3, v22, v5
	ds_write_b64 v31, v[13:14] offset:1056
	ds_write_b64 v4, v[2:3] offset:10560
	ds_read_b64 v[2:3], v31 offset:2112
	ds_read_b64 v[5:6], v4 offset:9504
	s_waitcnt lgkmcnt(0)
	v_add_f32_e32 v13, v2, v5
	v_add_f32_e32 v14, v6, v3
	v_sub_f32_e32 v15, v2, v5
	v_sub_f32_e32 v2, v3, v6
	s_waitcnt vmcnt(2)
	v_fma_f32 v21, v15, v8, v13
	v_fma_f32 v3, v14, v8, v2
	v_fma_f32 v5, -v15, v8, v13
	v_fma_f32 v6, v14, v8, -v2
	v_fma_f32 v2, -v7, v14, v21
	v_fmac_f32_e32 v3, v15, v7
	v_fmac_f32_e32 v5, v7, v14
	v_fmac_f32_e32 v6, v15, v7
	ds_write_b64 v31, v[2:3] offset:2112
	ds_write_b64 v4, v[5:6] offset:9504
	ds_read_b64 v[2:3], v31 offset:3168
	ds_read_b64 v[5:6], v4 offset:8448
	;; [unrolled: 18-line block ×3, first 2 shown]
	s_waitcnt lgkmcnt(0)
	v_add_f32_e32 v7, v2, v5
	v_add_f32_e32 v8, v6, v3
	v_sub_f32_e32 v9, v2, v5
	v_sub_f32_e32 v2, v3, v6
	s_waitcnt vmcnt(0)
	v_fma_f32 v10, v9, v12, v7
	v_fma_f32 v3, v8, v12, v2
	v_fma_f32 v5, -v9, v12, v7
	v_fma_f32 v6, v8, v12, -v2
	v_fma_f32 v2, -v11, v8, v10
	v_fmac_f32_e32 v3, v9, v11
	v_fmac_f32_e32 v5, v11, v8
	;; [unrolled: 1-line block ×3, first 2 shown]
	ds_write_b64 v31, v[2:3] offset:4224
	ds_write_b64 v4, v[5:6] offset:7392
	s_and_saveexec_b64 s[2:3], vcc
	s_cbranch_execz .LBB0_21
; %bb.20:
	v_add_co_u32_e32 v0, vcc, 0x1000, v0
	v_addc_co_u32_e32 v1, vcc, 0, v1, vcc
	global_load_dwordx2 v[0:1], v[0:1], off offset:1184
	ds_read_b64 v[2:3], v31 offset:5280
	ds_read_b64 v[5:6], v4 offset:6336
	s_waitcnt lgkmcnt(0)
	v_add_f32_e32 v7, v2, v5
	v_add_f32_e32 v8, v6, v3
	v_sub_f32_e32 v9, v2, v5
	v_sub_f32_e32 v3, v3, v6
	s_waitcnt vmcnt(0)
	v_fma_f32 v10, v9, v1, v7
	v_fma_f32 v2, v8, v1, v3
	v_fma_f32 v5, -v9, v1, v7
	v_fma_f32 v6, v8, v1, -v3
	v_fma_f32 v1, -v0, v8, v10
	v_fmac_f32_e32 v2, v9, v0
	v_fmac_f32_e32 v5, v0, v8
	v_fmac_f32_e32 v6, v9, v0
	ds_write_b64 v31, v[1:2] offset:5280
	ds_write_b64 v4, v[5:6] offset:6336
.LBB0_21:
	s_or_b64 exec, exec, s[2:3]
	s_waitcnt lgkmcnt(0)
	s_barrier
	s_barrier
	ds_read2_b64 v[0:3], v31 offset1:132
	v_add_u32_e32 v15, 0x800, v31
	ds_read2_b64 v[33:36], v15 offset0:8 offset1:140
	v_add_u32_e32 v14, 0x1000, v31
	ds_read2_b64 v[4:7], v14 offset0:16 offset1:148
	;; [unrolled: 2-line block ×3, first 2 shown]
	s_waitcnt lgkmcnt(3)
	v_add_f32_e32 v21, v0, v2
	v_add_f32_e32 v22, v1, v3
	v_add_u32_e32 v12, 0x2000, v31
	s_waitcnt lgkmcnt(2)
	v_add_f32_e32 v21, v21, v33
	v_add_f32_e32 v22, v22, v34
	ds_read2_b64 v[37:40], v12 offset0:32 offset1:164
	ds_read_b64 v[12:13], v31 offset:10560
	v_add_f32_e32 v21, v21, v35
	v_add_f32_e32 v22, v22, v36
	s_waitcnt lgkmcnt(3)
	v_add_f32_e32 v21, v21, v4
	v_add_f32_e32 v22, v22, v5
	v_add_f32_e32 v21, v21, v6
	v_add_f32_e32 v22, v22, v7
	s_waitcnt lgkmcnt(2)
	v_add_f32_e32 v21, v21, v8
	v_add_f32_e32 v22, v22, v9
	;; [unrolled: 5-line block ×3, first 2 shown]
	v_add_f32_e32 v25, v37, v35
	v_sub_f32_e32 v26, v35, v37
	v_add_f32_e32 v35, v8, v6
	v_sub_f32_e32 v37, v6, v8
	s_waitcnt lgkmcnt(0)
	v_sub_f32_e32 v6, v3, v13
	v_add_f32_e32 v22, v22, v40
	v_add_f32_e32 v27, v40, v34
	v_sub_f32_e32 v29, v34, v40
	v_add_f32_e32 v28, v38, v36
	v_sub_f32_e32 v30, v36, v38
	;; [unrolled: 2-line block ×4, first 2 shown]
	v_mul_f32_e32 v7, 0xbf0a6770, v6
	v_mul_f32_e32 v9, 0xbf68dda4, v6
	;; [unrolled: 1-line block ×5, first 2 shown]
	v_add_f32_e32 v21, v21, v39
	v_add_f32_e32 v32, v12, v2
	v_add_f32_e32 v23, v39, v33
	v_sub_f32_e32 v24, v33, v39
	v_add_f32_e32 v33, v10, v4
	v_sub_f32_e32 v4, v4, v10
	s_mov_b32 s6, 0x3f575c64
	v_mov_b32_e32 v8, v7
	s_mov_b32 s3, 0x3ed4b147
	v_mov_b32_e32 v10, v9
	;; [unrolled: 2-line block ×5, first 2 shown]
	v_add_f32_e32 v3, v13, v3
	v_fmac_f32_e32 v8, 0x3f575c64, v32
	v_fma_f32 v7, v32, s6, -v7
	v_fmac_f32_e32 v10, 0x3ed4b147, v32
	v_fma_f32 v9, v32, s3, -v9
	;; [unrolled: 2-line block ×5, first 2 shown]
	v_mul_f32_e32 v32, 0x3f575c64, v3
	v_mul_f32_e32 v44, 0x3ed4b147, v3
	;; [unrolled: 1-line block ×5, first 2 shown]
	v_sub_f32_e32 v2, v2, v12
	v_mov_b32_e32 v43, v32
	v_mov_b32_e32 v45, v44
	v_mov_b32_e32 v47, v46
	v_mov_b32_e32 v49, v48
	v_mov_b32_e32 v50, v3
	v_fmac_f32_e32 v43, 0x3f0a6770, v2
	v_fmac_f32_e32 v32, 0xbf0a6770, v2
	;; [unrolled: 1-line block ×10, first 2 shown]
	v_add_f32_e32 v2, v0, v8
	v_add_f32_e32 v7, v0, v7
	;; [unrolled: 1-line block ×11, first 2 shown]
	v_mul_f32_e32 v12, 0xbf68dda4, v29
	v_add_f32_e32 v8, v1, v43
	v_add_f32_e32 v32, v1, v32
	;; [unrolled: 1-line block ×11, first 2 shown]
	v_mov_b32_e32 v13, v12
	v_fmac_f32_e32 v13, 0x3ed4b147, v23
	v_add_f32_e32 v2, v13, v2
	v_mul_f32_e32 v13, 0x3ed4b147, v27
	v_mov_b32_e32 v21, v13
	v_fma_f32 v12, v23, s3, -v12
	v_fmac_f32_e32 v13, 0xbf68dda4, v24
	v_fmac_f32_e32 v21, 0x3f68dda4, v24
	v_add_f32_e32 v7, v12, v7
	v_add_f32_e32 v12, v13, v32
	v_mul_f32_e32 v13, 0xbf4178ce, v29
	v_add_f32_e32 v8, v21, v8
	v_mov_b32_e32 v21, v13
	v_fmac_f32_e32 v21, 0xbf27a4f4, v23
	v_add_f32_e32 v10, v21, v10
	v_mul_f32_e32 v21, 0xbf27a4f4, v27
	v_mov_b32_e32 v22, v21
	v_fma_f32 v13, v23, s7, -v13
	v_fmac_f32_e32 v21, 0xbf4178ce, v24
	v_add_f32_e32 v9, v13, v9
	v_add_f32_e32 v13, v21, v44
	v_mul_f32_e32 v21, 0x3e903f40, v29
	v_mov_b32_e32 v32, v21
	v_fmac_f32_e32 v32, 0xbf75a155, v23
	v_fmac_f32_e32 v22, 0x3f4178ce, v24
	v_add_f32_e32 v32, v32, v39
	v_mul_f32_e32 v39, 0xbf75a155, v27
	v_add_f32_e32 v22, v22, v43
	v_mov_b32_e32 v43, v39
	v_fma_f32 v21, v23, s8, -v21
	v_fmac_f32_e32 v39, 0x3e903f40, v24
	v_add_f32_e32 v11, v21, v11
	v_add_f32_e32 v21, v39, v46
	v_mul_f32_e32 v39, 0x3f7d64f0, v29
	v_mov_b32_e32 v44, v39
	v_fmac_f32_e32 v44, 0xbe11bafb, v23
	v_fmac_f32_e32 v43, 0xbe903f40, v24
	v_add_f32_e32 v41, v44, v41
	v_mul_f32_e32 v44, 0xbe11bafb, v27
	v_add_f32_e32 v43, v43, v45
	v_mov_b32_e32 v45, v44
	v_fma_f32 v39, v23, s2, -v39
	v_fmac_f32_e32 v44, 0x3f7d64f0, v24
	v_mul_f32_e32 v29, 0x3f0a6770, v29
	v_add_f32_e32 v39, v39, v40
	v_add_f32_e32 v40, v44, v48
	v_mov_b32_e32 v44, v29
	v_fmac_f32_e32 v44, 0x3f575c64, v23
	v_mul_f32_e32 v27, 0x3f575c64, v27
	v_fma_f32 v23, v23, s6, -v29
	v_add_f32_e32 v42, v44, v42
	v_mov_b32_e32 v44, v27
	v_add_f32_e32 v6, v23, v6
	v_mul_f32_e32 v23, 0xbf7d64f0, v30
	v_fmac_f32_e32 v45, 0xbf7d64f0, v24
	v_fmac_f32_e32 v44, 0xbf0a6770, v24
	;; [unrolled: 1-line block ×3, first 2 shown]
	v_mov_b32_e32 v24, v23
	v_fmac_f32_e32 v24, 0xbe11bafb, v25
	v_add_f32_e32 v2, v24, v2
	v_mul_f32_e32 v24, 0xbe11bafb, v28
	v_fma_f32 v23, v25, s2, -v23
	v_add_f32_e32 v3, v27, v3
	v_mov_b32_e32 v27, v24
	v_add_f32_e32 v7, v23, v7
	v_fmac_f32_e32 v24, 0xbf7d64f0, v26
	v_mul_f32_e32 v23, 0x3e903f40, v30
	v_add_f32_e32 v12, v24, v12
	v_mov_b32_e32 v24, v23
	v_fmac_f32_e32 v24, 0xbf75a155, v25
	v_fmac_f32_e32 v27, 0x3f7d64f0, v26
	v_add_f32_e32 v10, v24, v10
	v_mul_f32_e32 v24, 0xbf75a155, v28
	v_add_f32_e32 v8, v27, v8
	v_mov_b32_e32 v27, v24
	v_fma_f32 v23, v25, s8, -v23
	v_fmac_f32_e32 v27, 0xbe903f40, v26
	v_add_f32_e32 v9, v23, v9
	v_fmac_f32_e32 v24, 0x3e903f40, v26
	v_mul_f32_e32 v23, 0x3f68dda4, v30
	v_add_f32_e32 v22, v27, v22
	v_add_f32_e32 v13, v24, v13
	v_mov_b32_e32 v24, v23
	v_mul_f32_e32 v27, 0x3ed4b147, v28
	v_fma_f32 v23, v25, s3, -v23
	v_mov_b32_e32 v29, v27
	v_add_f32_e32 v11, v23, v11
	v_fmac_f32_e32 v27, 0x3f68dda4, v26
	v_mul_f32_e32 v23, 0xbf0a6770, v30
	v_fmac_f32_e32 v24, 0x3ed4b147, v25
	v_add_f32_e32 v21, v27, v21
	v_mov_b32_e32 v27, v23
	v_fma_f32 v23, v25, s6, -v23
	v_mul_f32_e32 v30, 0xbf4178ce, v30
	v_add_f32_e32 v24, v24, v32
	v_fmac_f32_e32 v27, 0x3f575c64, v25
	v_mul_f32_e32 v32, 0x3f575c64, v28
	v_add_f32_e32 v23, v23, v39
	v_mov_b32_e32 v39, v30
	v_add_f32_e32 v27, v27, v41
	v_mov_b32_e32 v41, v32
	v_fmac_f32_e32 v32, 0xbf0a6770, v26
	v_fmac_f32_e32 v39, 0xbf27a4f4, v25
	v_mul_f32_e32 v28, 0xbf27a4f4, v28
	v_fma_f32 v25, v25, s7, -v30
	v_add_f32_e32 v32, v32, v40
	v_mov_b32_e32 v40, v28
	v_add_f32_e32 v6, v25, v6
	v_mul_f32_e32 v25, 0xbf4178ce, v5
	v_fmac_f32_e32 v29, 0xbf68dda4, v26
	v_fmac_f32_e32 v41, 0x3f0a6770, v26
	;; [unrolled: 1-line block ×4, first 2 shown]
	v_mov_b32_e32 v26, v25
	v_fmac_f32_e32 v26, 0xbf27a4f4, v33
	v_add_f32_e32 v2, v26, v2
	v_mul_f32_e32 v26, 0xbf27a4f4, v34
	v_fma_f32 v25, v33, s7, -v25
	v_add_f32_e32 v3, v28, v3
	v_mov_b32_e32 v28, v26
	v_add_f32_e32 v7, v25, v7
	v_fmac_f32_e32 v26, 0xbf4178ce, v4
	v_mul_f32_e32 v25, 0x3f7d64f0, v5
	v_add_f32_e32 v12, v26, v12
	v_mov_b32_e32 v26, v25
	v_fmac_f32_e32 v26, 0xbe11bafb, v33
	v_fmac_f32_e32 v28, 0x3f4178ce, v4
	v_add_f32_e32 v10, v26, v10
	v_mul_f32_e32 v26, 0xbe11bafb, v34
	v_add_f32_e32 v8, v28, v8
	v_mov_b32_e32 v28, v26
	v_fmac_f32_e32 v28, 0xbf7d64f0, v4
	v_add_f32_e32 v28, v28, v22
	v_fma_f32 v22, v33, s2, -v25
	v_add_f32_e32 v9, v22, v9
	v_mul_f32_e32 v22, 0xbf0a6770, v5
	v_mov_b32_e32 v25, v22
	v_fmac_f32_e32 v25, 0x3f575c64, v33
	v_fmac_f32_e32 v26, 0x3f7d64f0, v4
	v_add_f32_e32 v25, v25, v24
	v_mul_f32_e32 v24, 0x3f575c64, v34
	v_add_f32_e32 v13, v26, v13
	v_mov_b32_e32 v26, v24
	v_add_f32_e32 v29, v29, v43
	v_fmac_f32_e32 v26, 0x3f0a6770, v4
	v_fmac_f32_e32 v24, 0xbf0a6770, v4
	v_add_f32_e32 v26, v26, v29
	v_fma_f32 v22, v33, s6, -v22
	v_add_f32_e32 v29, v24, v21
	v_mul_f32_e32 v21, 0xbe903f40, v5
	v_add_f32_e32 v11, v22, v11
	v_mov_b32_e32 v22, v21
	v_fmac_f32_e32 v22, 0xbf75a155, v33
	v_add_f32_e32 v27, v22, v27
	v_mul_f32_e32 v22, 0xbf75a155, v34
	v_add_f32_e32 v45, v45, v47
	v_mov_b32_e32 v24, v22
	v_add_f32_e32 v41, v41, v45
	v_fmac_f32_e32 v24, 0x3e903f40, v4
	v_fma_f32 v21, v33, s8, -v21
	v_mul_f32_e32 v5, 0x3f68dda4, v5
	v_add_f32_e32 v30, v24, v41
	v_add_f32_e32 v41, v21, v23
	v_mov_b32_e32 v21, v5
	v_add_f32_e32 v39, v39, v42
	v_fmac_f32_e32 v21, 0x3ed4b147, v33
	v_fmac_f32_e32 v22, 0xbe903f40, v4
	v_add_f32_e32 v39, v21, v39
	v_mul_f32_e32 v21, 0x3ed4b147, v34
	v_add_f32_e32 v44, v44, v49
	v_add_f32_e32 v32, v22, v32
	v_mov_b32_e32 v22, v21
	v_add_f32_e32 v40, v40, v44
	v_fmac_f32_e32 v22, 0xbf68dda4, v4
	v_fmac_f32_e32 v21, 0x3f68dda4, v4
	v_mul_f32_e32 v4, 0xbe903f40, v38
	v_add_f32_e32 v34, v22, v40
	v_fma_f32 v5, v33, s3, -v5
	v_add_f32_e32 v40, v21, v3
	v_mov_b32_e32 v3, v4
	v_add_f32_e32 v33, v5, v6
	v_fmac_f32_e32 v3, 0xbf75a155, v35
	v_mul_f32_e32 v5, 0xbf75a155, v36
	v_fma_f32 v4, v35, s8, -v4
	v_mul_f32_e32 v6, 0x3f0a6770, v38
	v_add_f32_e32 v2, v3, v2
	v_mov_b32_e32 v3, v5
	v_add_f32_e32 v21, v4, v7
	v_fmac_f32_e32 v5, 0xbe903f40, v37
	v_mov_b32_e32 v4, v6
	v_fmac_f32_e32 v3, 0x3e903f40, v37
	v_add_f32_e32 v22, v5, v12
	v_fmac_f32_e32 v4, 0x3f575c64, v35
	v_mul_f32_e32 v7, 0x3f575c64, v36
	v_fma_f32 v6, v35, s6, -v6
	v_mul_f32_e32 v12, 0x3f68dda4, v38
	v_add_f32_e32 v3, v3, v8
	v_add_f32_e32 v4, v4, v10
	v_mov_b32_e32 v5, v7
	v_add_f32_e32 v23, v6, v9
	v_fmac_f32_e32 v7, 0x3f0a6770, v37
	v_mul_f32_e32 v8, 0xbf4178ce, v38
	v_mul_f32_e32 v9, 0xbf27a4f4, v36
	v_mov_b32_e32 v10, v12
	v_fmac_f32_e32 v5, 0xbf0a6770, v37
	v_add_f32_e32 v24, v7, v13
	v_mov_b32_e32 v6, v8
	v_mov_b32_e32 v7, v9
	v_fmac_f32_e32 v10, 0x3ed4b147, v35
	v_add_f32_e32 v5, v5, v28
	v_fmac_f32_e32 v6, 0xbf27a4f4, v35
	v_fmac_f32_e32 v7, 0x3f4178ce, v37
	v_fma_f32 v8, v35, s7, -v8
	v_add_f32_e32 v10, v10, v27
	v_mul_f32_e32 v13, 0x3ed4b147, v36
	v_mul_f32_e32 v27, 0xbf7d64f0, v38
	v_mul_f32_e32 v28, 0xbe11bafb, v36
	v_add_f32_e32 v6, v6, v25
	v_add_f32_e32 v7, v7, v26
	v_add_f32_e32 v8, v8, v11
	v_fmac_f32_e32 v9, 0xbf4178ce, v37
	v_mov_b32_e32 v11, v13
	v_mov_b32_e32 v25, v27
	;; [unrolled: 1-line block ×3, first 2 shown]
	v_fma_f32 v27, v35, s2, -v27
	s_movk_i32 s2, 0x50
	v_add_f32_e32 v9, v9, v29
	v_fmac_f32_e32 v11, 0xbf68dda4, v37
	v_fma_f32 v12, v35, s3, -v12
	v_fmac_f32_e32 v13, 0x3f68dda4, v37
	v_fmac_f32_e32 v25, 0xbe11bafb, v35
	;; [unrolled: 1-line block ×4, first 2 shown]
	v_mad_u32_u24 v29, v20, s2, v31
	v_add_f32_e32 v11, v11, v30
	v_add_f32_e32 v12, v12, v41
	;; [unrolled: 1-line block ×7, first 2 shown]
	s_barrier
	ds_write2_b64 v29, v[0:1], v[2:3] offset1:1
	ds_write2_b64 v29, v[4:5], v[6:7] offset0:2 offset1:3
	ds_write2_b64 v29, v[10:11], v[25:26] offset0:4 offset1:5
	;; [unrolled: 1-line block ×4, first 2 shown]
	ds_write_b64 v29, v[21:22] offset:80
	v_add_u32_e32 v8, 0x1c00, v31
	s_waitcnt lgkmcnt(0)
	s_barrier
	ds_read2_b64 v[4:7], v31 offset1:132
	ds_read2_b64 v[0:3], v15 offset0:8 offset1:228
	ds_read2_b64 v[8:11], v8 offset0:72 offset1:204
	;; [unrolled: 1-line block ×3, first 2 shown]
	ds_read_b64 v[25:26], v31 offset:9856
	s_movk_i32 s2, 0x58
	v_cmp_gt_u32_e32 vcc, s2, v20
                                        ; implicit-def: $vgpr28
	s_and_saveexec_b64 s[2:3], vcc
	s_cbranch_execz .LBB0_23
; %bb.22:
	ds_read_b64 v[23:24], v31 offset:3168
	ds_read_b64 v[21:22], v31 offset:7040
	;; [unrolled: 1-line block ×3, first 2 shown]
.LBB0_23:
	s_or_b64 exec, exec, s[2:3]
	s_movk_i32 s2, 0x75
	v_add_u32_e32 v29, 0x108, v20
	v_mul_lo_u16_sdwa v34, v20, s2 dst_sel:DWORD dst_unused:UNUSED_PAD src0_sel:BYTE_0 src1_sel:DWORD
	s_mov_b32 s2, 0xba2f
	v_mul_u32_u24_sdwa v30, v29, s2 dst_sel:DWORD dst_unused:UNUSED_PAD src0_sel:WORD_0 src1_sel:DWORD
	v_sub_u16_sdwa v43, v20, v34 dst_sel:DWORD dst_unused:UNUSED_PAD src0_sel:DWORD src1_sel:BYTE_1
	v_lshrrev_b32_e32 v51, 19, v30
	v_lshrrev_b16_e32 v43, 1, v43
	v_add_u32_e32 v32, 0x18c, v20
	v_mul_lo_u16_e32 v30, 11, v51
	v_and_b32_e32 v43, 0x7f, v43
	v_sub_u16_e32 v52, v29, v30
	v_mul_u32_u24_sdwa v30, v32, s2 dst_sel:DWORD dst_unused:UNUSED_PAD src0_sel:WORD_0 src1_sel:DWORD
	v_add_u16_sdwa v34, v43, v34 dst_sel:DWORD dst_unused:UNUSED_PAD src0_sel:DWORD src1_sel:BYTE_1
	v_lshrrev_b32_e32 v30, 19, v30
	v_lshrrev_b16_e32 v53, 3, v34
	v_add_u32_e32 v33, 0x84, v20
	v_mul_lo_u16_e32 v39, 11, v30
	v_mul_lo_u16_e32 v34, 11, v53
	v_sub_u16_e32 v32, v32, v39
	v_sub_u16_e32 v54, v20, v34
	v_mov_b32_e32 v34, 4
	v_mul_u32_u24_sdwa v43, v33, s2 dst_sel:DWORD dst_unused:UNUSED_PAD src0_sel:WORD_0 src1_sel:DWORD
	v_lshlrev_b32_e32 v39, 4, v32
	v_lshlrev_b32_sdwa v34, v34, v54 dst_sel:DWORD dst_unused:UNUSED_PAD src0_sel:DWORD src1_sel:BYTE_0
	v_lshrrev_b32_e32 v55, 19, v43
	global_load_dwordx4 v[39:42], v39, s[12:13]
	v_lshlrev_b32_e32 v35, 4, v52
	global_load_dwordx4 v[43:46], v34, s[12:13]
	v_mul_lo_u16_e32 v34, 11, v55
	v_sub_u16_e32 v56, v33, v34
	global_load_dwordx4 v[35:38], v35, s[12:13]
	v_lshlrev_b32_e32 v33, 4, v56
	global_load_dwordx4 v[47:50], v33, s[12:13]
	s_waitcnt vmcnt(0) lgkmcnt(0)
	s_barrier
	v_mul_f32_e32 v34, v28, v42
	v_mul_f32_e32 v33, v22, v40
	;; [unrolled: 1-line block ×4, first 2 shown]
	v_fmac_f32_e32 v34, v27, v41
	v_mul_f32_e32 v57, v36, v15
	v_mul_f32_e32 v36, v36, v14
	;; [unrolled: 1-line block ×4, first 2 shown]
	v_fmac_f32_e32 v57, v35, v14
	v_fma_f32 v59, v35, v15, -v36
	v_mul_f32_e32 v27, v48, v13
	v_mul_f32_e32 v35, v50, v11
	v_fmac_f32_e32 v58, v37, v25
	v_fma_f32 v60, v37, v26, -v38
	v_fmac_f32_e32 v33, v21, v39
	v_fma_f32 v14, v22, v39, -v40
	v_fma_f32 v15, v28, v41, -v42
	v_mul_f32_e32 v21, v44, v3
	v_mul_f32_e32 v22, v44, v2
	;; [unrolled: 1-line block ×5, first 2 shown]
	v_fmac_f32_e32 v27, v47, v12
	v_fmac_f32_e32 v35, v49, v10
	v_mul_f32_e32 v36, v50, v10
	v_fmac_f32_e32 v21, v43, v2
	v_fma_f32 v2, v43, v3, -v22
	v_fmac_f32_e32 v25, v45, v8
	v_fma_f32 v3, v45, v9, -v26
	v_fma_f32 v8, v47, v13, -v28
	v_add_f32_e32 v28, v27, v35
	v_fma_f32 v13, v49, v11, -v36
	v_add_f32_e32 v9, v4, v21
	v_add_f32_e32 v10, v21, v25
	v_sub_f32_e32 v22, v2, v3
	v_add_f32_e32 v12, v5, v2
	v_add_f32_e32 v2, v2, v3
	;; [unrolled: 1-line block ×3, first 2 shown]
	v_fma_f32 v6, -0.5, v28, v6
	v_sub_f32_e32 v21, v21, v25
	v_sub_f32_e32 v37, v8, v13
	;; [unrolled: 1-line block ×3, first 2 shown]
	v_add_f32_e32 v9, v9, v25
	v_fma_f32 v11, -0.5, v10, v4
	v_add_f32_e32 v10, v12, v3
	v_fma_f32 v12, -0.5, v2, v5
	v_add_f32_e32 v25, v26, v35
	v_mov_b32_e32 v35, v6
	v_add_f32_e32 v2, v0, v57
	v_fmac_f32_e32 v6, 0x3f5db3d7, v37
	v_fmac_f32_e32 v35, 0xbf5db3d7, v37
	v_add_f32_e32 v37, v2, v58
	v_add_f32_e32 v2, v57, v58
	;; [unrolled: 1-line block ×4, first 2 shown]
	v_fma_f32 v0, -0.5, v2, v0
	v_fmac_f32_e32 v7, -0.5, v8
	v_sub_f32_e32 v2, v59, v60
	v_mov_b32_e32 v39, v0
	v_add_f32_e32 v26, v36, v13
	v_mov_b32_e32 v36, v7
	v_fmac_f32_e32 v39, 0xbf5db3d7, v2
	v_fmac_f32_e32 v0, 0x3f5db3d7, v2
	v_add_f32_e32 v2, v1, v59
	v_fmac_f32_e32 v36, 0x3f5db3d7, v38
	v_fmac_f32_e32 v7, 0xbf5db3d7, v38
	v_add_f32_e32 v38, v2, v60
	v_add_f32_e32 v2, v59, v60
	v_fmac_f32_e32 v1, -0.5, v2
	v_sub_f32_e32 v2, v57, v58
	v_mov_b32_e32 v40, v1
	v_fmac_f32_e32 v40, 0x3f5db3d7, v2
	v_fmac_f32_e32 v1, 0xbf5db3d7, v2
	v_add_f32_e32 v2, v33, v34
	v_fma_f32 v3, -0.5, v2, v23
	v_add_f32_e32 v2, v14, v15
	v_fma_f32 v5, -0.5, v2, v24
	v_mov_b32_e32 v2, 3
	v_mov_b32_e32 v27, v11
	v_mov_b32_e32 v28, v12
	v_mul_u32_u24_e32 v13, 0x108, v53
	v_lshlrev_b32_sdwa v41, v2, v54 dst_sel:DWORD dst_unused:UNUSED_PAD src0_sel:DWORD src1_sel:BYTE_0
	v_fmac_f32_e32 v27, 0xbf5db3d7, v22
	v_fmac_f32_e32 v28, 0x3f5db3d7, v21
	v_add3_u32 v13, 0, v13, v41
	v_fmac_f32_e32 v11, 0x3f5db3d7, v22
	v_fmac_f32_e32 v12, 0xbf5db3d7, v21
	ds_write2_b64 v13, v[9:10], v[27:28] offset1:11
	ds_write_b64 v13, v[11:12] offset:176
	v_mul_u32_u24_e32 v9, 0x108, v55
	v_lshlrev_b32_e32 v10, 3, v56
	v_add3_u32 v9, 0, v9, v10
	v_sub_f32_e32 v4, v14, v15
	v_mov_b32_e32 v21, v3
	v_sub_f32_e32 v8, v33, v34
	v_mov_b32_e32 v22, v5
	ds_write2_b64 v9, v[25:26], v[35:36] offset1:11
	ds_write_b64 v9, v[6:7] offset:176
	v_mul_u32_u24_e32 v6, 0x108, v51
	v_lshlrev_b32_e32 v7, 3, v52
	v_fmac_f32_e32 v21, 0x3f5db3d7, v4
	v_fmac_f32_e32 v22, 0xbf5db3d7, v8
	v_add3_u32 v6, 0, v6, v7
	ds_write2_b64 v6, v[37:38], v[39:40] offset1:11
	ds_write_b64 v6, v[0:1] offset:176
	s_and_saveexec_b64 s[2:3], vcc
	s_cbranch_execz .LBB0_25
; %bb.24:
	v_mul_f32_e32 v0, 0x3f5db3d7, v4
	v_mul_f32_e32 v1, 0x3f5db3d7, v8
	v_add_f32_e32 v1, v1, v5
	v_sub_f32_e32 v0, v3, v0
	v_add_f32_e32 v3, v24, v14
	v_mul_lo_u16_e32 v5, 33, v30
	v_add_f32_e32 v4, v3, v15
	v_add_f32_e32 v3, v23, v33
	v_lshlrev_b32_e32 v6, 3, v32
	v_lshlrev_b32_e32 v5, 3, v5
	v_add_f32_e32 v3, v3, v34
	v_add3_u32 v5, 0, v6, v5
	ds_write2_b64 v5, v[3:4], v[0:1] offset1:11
	ds_write_b64 v5, v[21:22] offset:176
.LBB0_25:
	s_or_b64 exec, exec, s[2:3]
	s_movk_i32 s2, 0xf9
	v_mul_lo_u16_sdwa v0, v20, s2 dst_sel:DWORD dst_unused:UNUSED_PAD src0_sel:BYTE_0 src1_sel:DWORD
	v_lshrrev_b16_e32 v0, 13, v0
	v_mul_lo_u16_e32 v1, 33, v0
	v_sub_u16_e32 v1, v20, v1
	v_mov_b32_e32 v3, 10
	v_mul_u32_u24_sdwa v3, v1, v3 dst_sel:DWORD dst_unused:UNUSED_PAD src0_sel:BYTE_0 src1_sel:DWORD
	v_lshlrev_b32_e32 v15, 3, v3
	s_waitcnt lgkmcnt(0)
	s_barrier
	global_load_dwordx4 v[3:6], v15, s[12:13] offset:176
	global_load_dwordx4 v[7:10], v15, s[12:13] offset:192
	;; [unrolled: 1-line block ×5, first 2 shown]
	ds_read2_b64 v[38:41], v31 offset1:132
	v_add_u32_e32 v33, 0x800, v31
	v_add_u32_e32 v15, 0x1000, v31
	;; [unrolled: 1-line block ×4, first 2 shown]
	ds_read_b64 v[27:28], v31 offset:10560
	ds_read2_b64 v[42:45], v33 offset0:8 offset1:140
	ds_read2_b64 v[46:49], v15 offset0:16 offset1:148
	;; [unrolled: 1-line block ×4, first 2 shown]
	s_mov_b32 s2, 0x3f575c64
	s_mov_b32 s3, 0x3ed4b147
	;; [unrolled: 1-line block ×3, first 2 shown]
	v_mul_u32_u24_e32 v0, 0xb58, v0
	v_lshlrev_b32_sdwa v1, v2, v1 dst_sel:DWORD dst_unused:UNUSED_PAD src0_sel:DWORD src1_sel:BYTE_0
	v_add3_u32 v0, 0, v0, v1
	s_waitcnt vmcnt(0) lgkmcnt(0)
	s_barrier
	v_add_u32_e32 v1, 0x800, v0
	v_mul_f32_e32 v15, v4, v41
	v_mul_f32_e32 v4, v4, v40
	;; [unrolled: 1-line block ×10, first 2 shown]
	v_fmac_f32_e32 v15, v3, v40
	v_fma_f32 v3, v3, v41, -v4
	v_fmac_f32_e32 v30, v5, v42
	v_fma_f32 v5, v5, v43, -v6
	v_mul_f32_e32 v6, v51, v14
	v_mul_f32_e32 v4, v50, v14
	;; [unrolled: 1-line block ×4, first 2 shown]
	v_fmac_f32_e32 v58, v7, v44
	v_fma_f32 v7, v7, v45, -v8
	v_mul_f32_e32 v8, v55, v26
	v_mul_f32_e32 v26, v54, v26
	v_fmac_f32_e32 v59, v9, v46
	v_fma_f32 v9, v9, v47, -v10
	v_mul_f32_e32 v10, v28, v37
	v_mul_f32_e32 v37, v27, v37
	;; [unrolled: 1-line block ×4, first 2 shown]
	v_fmac_f32_e32 v60, v11, v48
	v_fma_f32 v11, v11, v49, -v12
	v_fmac_f32_e32 v6, v50, v13
	v_fma_f32 v12, v51, v13, -v4
	;; [unrolled: 2-line block ×4, first 2 shown]
	v_fma_f32 v4, v28, v36, -v37
	v_add_f32_e32 v25, v15, v38
	v_fmac_f32_e32 v40, v56, v34
	v_fma_f32 v24, v57, v34, -v35
	v_add_f32_e32 v26, v3, v39
	v_add_f32_e32 v28, v3, v4
	v_sub_f32_e32 v34, v3, v4
	v_add_f32_e32 v3, v25, v30
	v_add_f32_e32 v25, v26, v5
	;; [unrolled: 1-line block ×11, first 2 shown]
	v_fmac_f32_e32 v10, v27, v36
	v_add_f32_e32 v25, v25, v13
	v_add_f32_e32 v3, v3, v8
	;; [unrolled: 1-line block ×3, first 2 shown]
	v_sub_f32_e32 v15, v15, v10
	v_mul_f32_e32 v26, 0xbf0a6770, v34
	v_mul_f32_e32 v35, 0x3f575c64, v28
	v_add_f32_e32 v25, v25, v23
	v_add_f32_e32 v3, v3, v40
	v_mov_b32_e32 v36, v26
	v_mov_b32_e32 v37, v35
	v_add_f32_e32 v25, v25, v24
	v_add_f32_e32 v3, v3, v10
	v_fma_f32 v10, v27, s2, -v26
	v_fmac_f32_e32 v35, 0xbf0a6770, v15
	v_mul_f32_e32 v26, 0xbf68dda4, v34
	v_mul_f32_e32 v43, 0xbf7d64f0, v34
	;; [unrolled: 1-line block ×4, first 2 shown]
	v_add_f32_e32 v4, v25, v4
	v_add_f32_e32 v25, v35, v39
	v_mov_b32_e32 v35, v26
	v_mov_b32_e32 v44, v43
	;; [unrolled: 1-line block ×4, first 2 shown]
	v_fmac_f32_e32 v36, 0x3f575c64, v27
	v_fmac_f32_e32 v35, 0x3ed4b147, v27
	v_mul_f32_e32 v41, 0x3ed4b147, v28
	v_fma_f32 v26, v27, s3, -v26
	v_fmac_f32_e32 v44, 0xbe11bafb, v27
	v_mul_f32_e32 v45, 0xbe11bafb, v28
	v_fma_f32 v43, v27, s6, -v43
	;; [unrolled: 3-line block ×4, first 2 shown]
	v_add_f32_e32 v34, v5, v24
	v_sub_f32_e32 v5, v5, v24
	v_mov_b32_e32 v42, v41
	v_mov_b32_e32 v46, v45
	;; [unrolled: 1-line block ×4, first 2 shown]
	v_fmac_f32_e32 v28, 0xbe903f40, v15
	v_mul_f32_e32 v24, 0xbf68dda4, v5
	v_fmac_f32_e32 v37, 0x3f0a6770, v15
	v_add_f32_e32 v36, v36, v38
	v_add_f32_e32 v10, v10, v38
	;; [unrolled: 1-line block ×3, first 2 shown]
	v_fmac_f32_e32 v42, 0x3f68dda4, v15
	v_add_f32_e32 v26, v26, v38
	v_fmac_f32_e32 v41, 0xbf68dda4, v15
	v_add_f32_e32 v44, v44, v38
	;; [unrolled: 2-line block ×7, first 2 shown]
	v_add_f32_e32 v15, v28, v39
	v_add_f32_e32 v28, v30, v40
	v_mov_b32_e32 v38, v24
	v_fmac_f32_e32 v38, 0x3ed4b147, v28
	v_sub_f32_e32 v30, v30, v40
	v_add_f32_e32 v36, v38, v36
	v_mul_f32_e32 v38, 0x3ed4b147, v34
	v_add_f32_e32 v37, v37, v39
	v_add_f32_e32 v42, v42, v39
	;; [unrolled: 1-line block ×8, first 2 shown]
	v_mov_b32_e32 v39, v38
	v_fma_f32 v24, v28, s3, -v24
	v_fmac_f32_e32 v38, 0xbf68dda4, v30
	v_add_f32_e32 v10, v24, v10
	v_add_f32_e32 v24, v38, v25
	v_mul_f32_e32 v25, 0xbf4178ce, v5
	v_mov_b32_e32 v38, v25
	v_fmac_f32_e32 v38, 0xbf27a4f4, v28
	v_fmac_f32_e32 v39, 0x3f68dda4, v30
	v_add_f32_e32 v35, v38, v35
	v_mul_f32_e32 v38, 0xbf27a4f4, v34
	v_add_f32_e32 v37, v39, v37
	v_mov_b32_e32 v39, v38
	v_fma_f32 v25, v28, s7, -v25
	v_fmac_f32_e32 v38, 0xbf4178ce, v30
	v_add_f32_e32 v25, v25, v26
	v_add_f32_e32 v26, v38, v41
	v_mul_f32_e32 v38, 0x3e903f40, v5
	v_mov_b32_e32 v40, v38
	v_fma_f32 v38, v28, s8, -v38
	v_fmac_f32_e32 v40, 0xbf75a155, v28
	v_add_f32_e32 v38, v38, v43
	v_mul_f32_e32 v43, 0x3f7d64f0, v5
	v_fmac_f32_e32 v39, 0x3f4178ce, v30
	v_add_f32_e32 v40, v40, v44
	v_mul_f32_e32 v41, 0xbf75a155, v34
	v_mov_b32_e32 v44, v43
	v_fma_f32 v43, v28, s6, -v43
	v_mul_f32_e32 v5, 0x3f0a6770, v5
	v_add_f32_e32 v39, v39, v42
	v_mov_b32_e32 v42, v41
	v_fmac_f32_e32 v41, 0x3e903f40, v30
	v_add_f32_e32 v43, v43, v47
	v_mov_b32_e32 v47, v5
	v_fmac_f32_e32 v42, 0xbe903f40, v30
	v_add_f32_e32 v41, v41, v45
	v_fmac_f32_e32 v44, 0xbe11bafb, v28
	v_mul_f32_e32 v45, 0xbe11bafb, v34
	v_fmac_f32_e32 v47, 0x3f575c64, v28
	v_mul_f32_e32 v34, 0x3f575c64, v34
	v_fma_f32 v5, v28, s2, -v5
	v_add_f32_e32 v28, v7, v23
	v_sub_f32_e32 v7, v7, v23
	v_add_f32_e32 v42, v42, v46
	v_add_f32_e32 v44, v44, v48
	v_mov_b32_e32 v46, v45
	v_mov_b32_e32 v48, v34
	v_mul_f32_e32 v23, 0xbf7d64f0, v7
	v_fmac_f32_e32 v46, 0xbf7d64f0, v30
	v_fmac_f32_e32 v45, 0x3f7d64f0, v30
	;; [unrolled: 1-line block ×3, first 2 shown]
	v_add_f32_e32 v5, v5, v27
	v_fmac_f32_e32 v34, 0x3f0a6770, v30
	v_add_f32_e32 v27, v58, v8
	v_mov_b32_e32 v30, v23
	v_add_f32_e32 v15, v34, v15
	v_sub_f32_e32 v8, v58, v8
	v_fmac_f32_e32 v30, 0xbe11bafb, v27
	v_mul_f32_e32 v34, 0xbe11bafb, v28
	v_add_f32_e32 v30, v30, v36
	v_mov_b32_e32 v36, v34
	v_fma_f32 v23, v27, s6, -v23
	v_fmac_f32_e32 v34, 0xbf7d64f0, v8
	v_add_f32_e32 v10, v23, v10
	v_add_f32_e32 v23, v34, v24
	v_mul_f32_e32 v24, 0x3e903f40, v7
	v_mov_b32_e32 v34, v24
	v_fmac_f32_e32 v34, 0xbf75a155, v27
	v_fmac_f32_e32 v36, 0x3f7d64f0, v8
	v_add_f32_e32 v34, v34, v35
	v_mul_f32_e32 v35, 0xbf75a155, v28
	v_add_f32_e32 v36, v36, v37
	v_mov_b32_e32 v37, v35
	v_fma_f32 v24, v27, s8, -v24
	v_fmac_f32_e32 v35, 0x3e903f40, v8
	v_add_f32_e32 v24, v24, v25
	v_add_f32_e32 v25, v35, v26
	v_mul_f32_e32 v26, 0x3f68dda4, v7
	v_fmac_f32_e32 v37, 0xbe903f40, v8
	v_mov_b32_e32 v35, v26
	v_add_f32_e32 v37, v37, v39
	v_fmac_f32_e32 v35, 0x3ed4b147, v27
	v_mul_f32_e32 v39, 0x3ed4b147, v28
	v_add_f32_e32 v35, v35, v40
	v_mov_b32_e32 v40, v39
	v_fma_f32 v26, v27, s3, -v26
	v_fmac_f32_e32 v39, 0x3f68dda4, v8
	v_add_f32_e32 v26, v26, v38
	v_add_f32_e32 v38, v39, v41
	v_mul_f32_e32 v39, 0xbf0a6770, v7
	v_fmac_f32_e32 v40, 0xbf68dda4, v8
	v_mov_b32_e32 v41, v39
	v_add_f32_e32 v40, v40, v42
	v_fmac_f32_e32 v41, 0x3f575c64, v27
	v_mul_f32_e32 v42, 0x3f575c64, v28
	v_add_f32_e32 v45, v45, v49
	v_add_f32_e32 v41, v41, v44
	v_mov_b32_e32 v44, v42
	v_fma_f32 v39, v27, s2, -v39
	v_fmac_f32_e32 v42, 0xbf0a6770, v8
	v_mul_f32_e32 v7, 0xbf4178ce, v7
	v_mul_f32_e32 v28, 0xbf27a4f4, v28
	v_add_f32_e32 v39, v39, v43
	v_add_f32_e32 v42, v42, v45
	v_mov_b32_e32 v43, v7
	v_mov_b32_e32 v45, v28
	v_fma_f32 v7, v27, s7, -v7
	v_fmac_f32_e32 v28, 0xbf4178ce, v8
	v_add_f32_e32 v5, v7, v5
	v_add_f32_e32 v7, v28, v15
	;; [unrolled: 1-line block ×3, first 2 shown]
	v_sub_f32_e32 v9, v9, v13
	v_mul_f32_e32 v13, 0xbf4178ce, v9
	v_fmac_f32_e32 v44, 0x3f0a6770, v8
	v_fmac_f32_e32 v43, 0xbf27a4f4, v27
	;; [unrolled: 1-line block ×3, first 2 shown]
	v_add_f32_e32 v8, v59, v14
	v_mov_b32_e32 v27, v13
	v_sub_f32_e32 v14, v59, v14
	v_fmac_f32_e32 v27, 0xbf27a4f4, v8
	v_mul_f32_e32 v28, 0xbf27a4f4, v15
	v_add_f32_e32 v27, v27, v30
	v_mov_b32_e32 v30, v28
	v_fma_f32 v13, v8, s7, -v13
	v_fmac_f32_e32 v28, 0xbf4178ce, v14
	v_add_f32_e32 v10, v13, v10
	v_add_f32_e32 v13, v28, v23
	v_mul_f32_e32 v23, 0x3f7d64f0, v9
	v_mov_b32_e32 v28, v23
	v_fmac_f32_e32 v28, 0xbe11bafb, v8
	v_fmac_f32_e32 v30, 0x3f4178ce, v14
	v_add_f32_e32 v28, v28, v34
	v_mul_f32_e32 v34, 0xbe11bafb, v15
	v_add_f32_e32 v30, v30, v36
	v_mov_b32_e32 v36, v34
	v_fmac_f32_e32 v36, 0xbf7d64f0, v14
	v_fma_f32 v23, v8, s6, -v23
	v_add_f32_e32 v36, v36, v37
	v_add_f32_e32 v37, v23, v24
	v_mul_f32_e32 v23, 0xbf0a6770, v9
	v_mov_b32_e32 v24, v23
	v_fmac_f32_e32 v34, 0x3f7d64f0, v14
	v_fmac_f32_e32 v24, 0x3f575c64, v8
	v_add_f32_e32 v25, v34, v25
	v_add_f32_e32 v34, v24, v35
	v_mul_f32_e32 v24, 0x3f575c64, v15
	v_fma_f32 v23, v8, s2, -v23
	v_mov_b32_e32 v35, v24
	v_add_f32_e32 v26, v23, v26
	v_fmac_f32_e32 v24, 0xbf0a6770, v14
	v_mul_f32_e32 v23, 0xbe903f40, v9
	v_add_f32_e32 v38, v24, v38
	v_mov_b32_e32 v24, v23
	v_fma_f32 v23, v8, s8, -v23
	v_mul_f32_e32 v9, 0x3f68dda4, v9
	v_add_f32_e32 v47, v47, v51
	v_fmac_f32_e32 v35, 0x3f0a6770, v14
	v_fmac_f32_e32 v24, 0xbf75a155, v8
	v_add_f32_e32 v39, v23, v39
	v_mov_b32_e32 v23, v9
	v_add_f32_e32 v43, v43, v47
	v_add_f32_e32 v35, v35, v40
	;; [unrolled: 1-line block ×3, first 2 shown]
	v_mul_f32_e32 v24, 0xbf75a155, v15
	v_fmac_f32_e32 v23, 0x3ed4b147, v8
	v_mul_f32_e32 v15, 0x3ed4b147, v15
	v_add_f32_e32 v46, v46, v50
	v_add_f32_e32 v48, v48, v52
	v_mov_b32_e32 v41, v24
	v_add_f32_e32 v43, v23, v43
	v_mov_b32_e32 v23, v15
	v_fmac_f32_e32 v15, 0x3f68dda4, v14
	v_sub_f32_e32 v49, v11, v12
	v_add_f32_e32 v44, v44, v46
	v_add_f32_e32 v45, v45, v48
	v_fmac_f32_e32 v41, 0x3e903f40, v14
	v_fmac_f32_e32 v23, 0xbf68dda4, v14
	v_fma_f32 v8, v8, s3, -v9
	v_add_f32_e32 v15, v15, v7
	v_add_f32_e32 v46, v60, v6
	;; [unrolled: 1-line block ×3, first 2 shown]
	v_mul_f32_e32 v7, 0xbe903f40, v49
	v_add_f32_e32 v41, v41, v44
	v_add_f32_e32 v44, v23, v45
	;; [unrolled: 1-line block ×3, first 2 shown]
	v_sub_f32_e32 v48, v60, v6
	v_mov_b32_e32 v5, v7
	v_mul_f32_e32 v8, 0xbf75a155, v47
	v_fma_f32 v7, v46, s8, -v7
	v_mul_f32_e32 v9, 0x3f0a6770, v49
	v_fmac_f32_e32 v24, 0xbe903f40, v14
	v_fmac_f32_e32 v5, 0xbf75a155, v46
	v_mov_b32_e32 v6, v8
	v_add_f32_e32 v23, v7, v10
	v_fmac_f32_e32 v8, 0xbe903f40, v48
	v_mov_b32_e32 v7, v9
	v_mul_f32_e32 v10, 0x3f575c64, v47
	v_fma_f32 v9, v46, s2, -v9
	v_mul_f32_e32 v11, 0xbf4178ce, v49
	v_add_f32_e32 v42, v24, v42
	v_add_f32_e32 v5, v5, v27
	v_fmac_f32_e32 v6, 0x3e903f40, v48
	v_add_f32_e32 v24, v8, v13
	v_fmac_f32_e32 v7, 0x3f575c64, v46
	v_mov_b32_e32 v8, v10
	v_add_f32_e32 v27, v9, v37
	v_fmac_f32_e32 v10, 0x3f0a6770, v48
	v_mov_b32_e32 v9, v11
	v_mul_f32_e32 v12, 0xbf27a4f4, v47
	v_add_f32_e32 v6, v6, v30
	v_add_f32_e32 v7, v7, v28
	;; [unrolled: 1-line block ×3, first 2 shown]
	v_fmac_f32_e32 v9, 0xbf27a4f4, v46
	v_mov_b32_e32 v10, v12
	v_mul_f32_e32 v30, 0xbf7d64f0, v49
	v_add_f32_e32 v9, v9, v34
	v_fmac_f32_e32 v10, 0x3f4178ce, v48
	v_fma_f32 v11, v46, s7, -v11
	v_fmac_f32_e32 v12, 0xbf4178ce, v48
	v_mul_f32_e32 v13, 0x3f68dda4, v49
	v_mul_f32_e32 v14, 0x3ed4b147, v47
	v_mov_b32_e32 v34, v30
	v_mul_f32_e32 v37, 0xbe11bafb, v47
	v_add_f32_e32 v10, v10, v35
	v_add_f32_e32 v25, v11, v26
	;; [unrolled: 1-line block ×3, first 2 shown]
	v_mov_b32_e32 v11, v13
	v_mov_b32_e32 v12, v14
	v_fmac_f32_e32 v34, 0xbe11bafb, v46
	v_mov_b32_e32 v35, v37
	v_fmac_f32_e32 v8, 0xbf0a6770, v48
	v_fmac_f32_e32 v11, 0x3ed4b147, v46
	;; [unrolled: 1-line block ×3, first 2 shown]
	v_fma_f32 v13, v46, s3, -v13
	v_fmac_f32_e32 v14, 0x3f68dda4, v48
	v_add_f32_e32 v34, v34, v43
	v_fmac_f32_e32 v35, 0x3f7d64f0, v48
	v_fma_f32 v30, v46, s6, -v30
	v_fmac_f32_e32 v37, 0xbf7d64f0, v48
	v_add_f32_e32 v8, v8, v36
	v_add_f32_e32 v11, v11, v40
	;; [unrolled: 1-line block ×8, first 2 shown]
	ds_write2_b64 v0, v[3:4], v[5:6] offset1:33
	ds_write2_b64 v0, v[7:8], v[9:10] offset0:66 offset1:99
	ds_write2_b64 v0, v[11:12], v[34:35] offset0:132 offset1:165
	;; [unrolled: 1-line block ×3, first 2 shown]
	v_add_u32_e32 v34, 0x1400, v31
	ds_write2_b64 v1, v[25:26], v[27:28] offset0:8 offset1:41
	ds_write_b64 v0, v[23:24] offset:2640
	s_waitcnt lgkmcnt(0)
	s_barrier
	ds_read2_b64 v[0:3], v31 offset1:132
	ds_read2_b64 v[4:7], v33 offset0:107 offset1:239
	ds_read2_b64 v[8:11], v34 offset0:86 offset1:218
	;; [unrolled: 1-line block ×3, first 2 shown]
	s_movk_i32 s2, 0x63
	s_movk_i32 s6, 0x1000
	v_cmp_gt_u32_e32 vcc, s2, v20
	s_and_saveexec_b64 s[2:3], vcc
	s_cbranch_execz .LBB0_27
; %bb.26:
	ds_read_b64 v[25:26], v31 offset:2112
	ds_read_b64 v[27:28], v31 offset:5016
	ds_read_b64 v[23:24], v31 offset:7920
	ds_read_b64 v[21:22], v31 offset:10824
.LBB0_27:
	s_or_b64 exec, exec, s[2:3]
	v_mul_u32_u24_e32 v30, 3, v20
	v_lshlrev_b32_e32 v30, 3, v30
	global_load_dwordx2 v[43:44], v30, s[12:13] offset:2832
	global_load_dwordx4 v[35:38], v30, s[12:13] offset:2816
	v_mov_b32_e32 v39, s13
	v_add_co_u32_e64 v30, s[2:3], s12, v30
	v_addc_co_u32_e64 v46, s[2:3], 0, v39, s[2:3]
	v_add_co_u32_e64 v39, s[2:3], s6, v30
	s_movk_i32 s7, 0x1760
	v_addc_co_u32_e64 v40, s[2:3], 0, v46, s[2:3]
	v_add_co_u32_e64 v45, s[2:3], s7, v30
	v_addc_co_u32_e64 v46, s[2:3], 0, v46, s[2:3]
	global_load_dwordx4 v[39:42], v[39:40], off offset:1888
	v_mov_b32_e32 v30, 0
	global_load_dwordx2 v[45:46], v[45:46], off offset:16
	s_waitcnt vmcnt(0) lgkmcnt(0)
	s_barrier
	v_mul_f32_e32 v49, v44, v13
	v_mul_f32_e32 v47, v36, v5
	;; [unrolled: 1-line block ×6, first 2 shown]
	v_fmac_f32_e32 v47, v35, v4
	v_fma_f32 v4, v35, v5, -v36
	v_fmac_f32_e32 v48, v37, v8
	v_fma_f32 v5, v37, v9, -v38
	;; [unrolled: 2-line block ×3, first 2 shown]
	v_sub_f32_e32 v38, v0, v48
	v_sub_f32_e32 v8, v4, v8
	v_mul_f32_e32 v12, v40, v7
	v_mul_f32_e32 v9, v40, v6
	;; [unrolled: 1-line block ×6, first 2 shown]
	v_sub_f32_e32 v40, v1, v5
	v_sub_f32_e32 v5, v47, v49
	v_fmac_f32_e32 v12, v39, v6
	v_fma_f32 v39, v39, v7, -v9
	v_fmac_f32_e32 v13, v41, v10
	v_fma_f32 v9, v41, v11, -v35
	v_fmac_f32_e32 v36, v45, v14
	v_fma_f32 v10, v45, v15, -v37
	v_fma_f32 v11, v0, 2.0, -v38
	v_fma_f32 v14, v1, 2.0, -v40
	;; [unrolled: 1-line block ×4, first 2 shown]
	v_sub_f32_e32 v1, v40, v5
	v_sub_f32_e32 v4, v11, v6
	;; [unrolled: 1-line block ×7, first 2 shown]
	v_add_f32_e32 v0, v38, v8
	v_fma_f32 v8, v11, 2.0, -v4
	v_fma_f32 v9, v14, 2.0, -v5
	v_fma_f32 v14, v2, 2.0, -v13
	v_fma_f32 v36, v3, 2.0, -v15
	v_fma_f32 v11, v12, 2.0, -v35
	v_fma_f32 v12, v39, 2.0, -v10
	v_add_f32_e32 v2, v13, v10
	v_sub_f32_e32 v3, v15, v35
	v_fma_f32 v6, v38, 2.0, -v0
	v_fma_f32 v7, v40, 2.0, -v1
	v_sub_f32_e32 v10, v14, v11
	v_sub_f32_e32 v11, v36, v12
	v_fma_f32 v12, v13, 2.0, -v2
	v_fma_f32 v13, v15, 2.0, -v3
	;; [unrolled: 1-line block ×4, first 2 shown]
	ds_write2_b64 v33, v[6:7], v[12:13] offset0:107 offset1:239
	ds_write2_b64 v34, v[4:5], v[10:11] offset0:86 offset1:218
	ds_write2_b64 v31, v[8:9], v[14:15] offset1:132
	ds_write2_b64 v32, v[0:1], v[2:3] offset0:65 offset1:197
	s_and_saveexec_b64 s[2:3], vcc
	s_cbranch_execz .LBB0_29
; %bb.28:
	v_add_u32_e32 v0, 0xffffff9d, v20
	v_cndmask_b32_e32 v0, v0, v29, vcc
	v_mul_i32_i24_e32 v29, 3, v0
	v_lshlrev_b64 v[0:1], 3, v[29:30]
	v_mov_b32_e32 v2, s13
	v_add_co_u32_e32 v4, vcc, s12, v0
	v_addc_co_u32_e32 v5, vcc, v2, v1, vcc
	global_load_dwordx4 v[0:3], v[4:5], off offset:2816
	global_load_dwordx2 v[6:7], v[4:5], off offset:2832
	s_waitcnt vmcnt(1)
	v_mul_f32_e32 v4, v23, v3
	v_mul_f32_e32 v5, v28, v1
	s_waitcnt vmcnt(0)
	v_mul_f32_e32 v8, v22, v7
	v_mul_f32_e32 v3, v24, v3
	;; [unrolled: 1-line block ×4, first 2 shown]
	v_fma_f32 v4, v24, v2, -v4
	v_fmac_f32_e32 v5, v27, v0
	v_fmac_f32_e32 v8, v21, v6
	;; [unrolled: 1-line block ×3, first 2 shown]
	v_fma_f32 v2, v28, v0, -v1
	v_fma_f32 v0, v22, v6, -v7
	v_sub_f32_e32 v4, v26, v4
	v_sub_f32_e32 v6, v5, v8
	;; [unrolled: 1-line block ×5, first 2 shown]
	v_add_f32_e32 v0, v7, v3
	v_fma_f32 v8, v26, 2.0, -v4
	v_fma_f32 v9, v2, 2.0, -v3
	;; [unrolled: 1-line block ×6, first 2 shown]
	v_sub_f32_e32 v5, v8, v9
	v_sub_f32_e32 v4, v10, v6
	v_fma_f32 v7, v8, 2.0, -v5
	v_fma_f32 v6, v10, 2.0, -v4
	ds_write_b64 v31, v[2:3] offset:5016
	ds_write_b64 v31, v[4:5] offset:7920
	;; [unrolled: 1-line block ×4, first 2 shown]
.LBB0_29:
	s_or_b64 exec, exec, s[2:3]
	s_waitcnt lgkmcnt(0)
	s_barrier
	s_and_saveexec_b64 s[2:3], s[0:1]
	s_cbranch_execz .LBB0_31
; %bb.30:
	v_mul_lo_u32 v0, s5, v18
	v_mul_lo_u32 v1, s4, v19
	v_mad_u64_u32 v[4:5], s[0:1], s4, v18, 0
	v_mov_b32_e32 v7, s11
	v_lshl_add_u32 v6, v20, 3, 0
	v_add3_u32 v5, v5, v1, v0
	v_lshlrev_b64 v[4:5], 3, v[4:5]
	v_mov_b32_e32 v21, 0
	v_add_co_u32_e32 v8, vcc, s10, v4
	v_addc_co_u32_e32 v7, vcc, v7, v5, vcc
	v_lshlrev_b64 v[4:5], 3, v[16:17]
	ds_read2_b64 v[0:3], v6 offset1:132
	v_add_co_u32_e32 v8, vcc, v8, v4
	v_addc_co_u32_e32 v7, vcc, v7, v5, vcc
	v_lshlrev_b64 v[4:5], 3, v[20:21]
	v_add_co_u32_e32 v4, vcc, v8, v4
	v_addc_co_u32_e32 v5, vcc, v7, v5, vcc
	s_waitcnt lgkmcnt(0)
	global_store_dwordx2 v[4:5], v[0:1], off
	v_add_u32_e32 v0, 0x84, v20
	v_mov_b32_e32 v1, v21
	v_lshlrev_b64 v[0:1], 3, v[0:1]
	v_add_u32_e32 v4, 0x108, v20
	v_add_co_u32_e32 v0, vcc, v8, v0
	v_addc_co_u32_e32 v1, vcc, v7, v1, vcc
	global_store_dwordx2 v[0:1], v[2:3], off
	v_add_u32_e32 v0, 0x800, v6
	v_mov_b32_e32 v5, v21
	ds_read2_b64 v[0:3], v0 offset0:8 offset1:140
	v_lshlrev_b64 v[4:5], 3, v[4:5]
	v_add_co_u32_e32 v4, vcc, v8, v4
	v_addc_co_u32_e32 v5, vcc, v7, v5, vcc
	s_waitcnt lgkmcnt(0)
	global_store_dwordx2 v[4:5], v[0:1], off
	v_add_u32_e32 v0, 0x18c, v20
	v_mov_b32_e32 v1, v21
	v_lshlrev_b64 v[0:1], 3, v[0:1]
	v_add_u32_e32 v4, 0x210, v20
	v_add_co_u32_e32 v0, vcc, v8, v0
	v_addc_co_u32_e32 v1, vcc, v7, v1, vcc
	global_store_dwordx2 v[0:1], v[2:3], off
	v_add_u32_e32 v0, 0x1000, v6
	v_mov_b32_e32 v5, v21
	ds_read2_b64 v[0:3], v0 offset0:16 offset1:148
	;; [unrolled: 15-line block ×4, first 2 shown]
	v_lshlrev_b64 v[4:5], 3, v[4:5]
	v_add_co_u32_e32 v4, vcc, v8, v4
	v_addc_co_u32_e32 v5, vcc, v7, v5, vcc
	s_waitcnt lgkmcnt(0)
	global_store_dwordx2 v[4:5], v[0:1], off
	v_add_u32_e32 v0, 0x4a4, v20
	v_mov_b32_e32 v1, v21
	v_lshlrev_b64 v[0:1], 3, v[0:1]
	v_add_u32_e32 v20, 0x528, v20
	v_add_co_u32_e32 v0, vcc, v8, v0
	v_addc_co_u32_e32 v1, vcc, v7, v1, vcc
	global_store_dwordx2 v[0:1], v[2:3], off
	ds_read_b64 v[0:1], v6 offset:10560
	v_lshlrev_b64 v[2:3], 3, v[20:21]
	v_add_co_u32_e32 v2, vcc, v8, v2
	v_addc_co_u32_e32 v3, vcc, v7, v3, vcc
	s_waitcnt lgkmcnt(0)
	global_store_dwordx2 v[2:3], v[0:1], off
.LBB0_31:
	s_endpgm
	.section	.rodata,"a",@progbits
	.p2align	6, 0x0
	.amdhsa_kernel fft_rtc_back_len1452_factors_11_3_11_4_wgs_132_tpt_132_halfLds_sp_op_CI_CI_unitstride_sbrr_C2R_dirReg
		.amdhsa_group_segment_fixed_size 0
		.amdhsa_private_segment_fixed_size 0
		.amdhsa_kernarg_size 104
		.amdhsa_user_sgpr_count 6
		.amdhsa_user_sgpr_private_segment_buffer 1
		.amdhsa_user_sgpr_dispatch_ptr 0
		.amdhsa_user_sgpr_queue_ptr 0
		.amdhsa_user_sgpr_kernarg_segment_ptr 1
		.amdhsa_user_sgpr_dispatch_id 0
		.amdhsa_user_sgpr_flat_scratch_init 0
		.amdhsa_user_sgpr_private_segment_size 0
		.amdhsa_uses_dynamic_stack 0
		.amdhsa_system_sgpr_private_segment_wavefront_offset 0
		.amdhsa_system_sgpr_workgroup_id_x 1
		.amdhsa_system_sgpr_workgroup_id_y 0
		.amdhsa_system_sgpr_workgroup_id_z 0
		.amdhsa_system_sgpr_workgroup_info 0
		.amdhsa_system_vgpr_workitem_id 0
		.amdhsa_next_free_vgpr 61
		.amdhsa_next_free_sgpr 28
		.amdhsa_reserve_vcc 1
		.amdhsa_reserve_flat_scratch 0
		.amdhsa_float_round_mode_32 0
		.amdhsa_float_round_mode_16_64 0
		.amdhsa_float_denorm_mode_32 3
		.amdhsa_float_denorm_mode_16_64 3
		.amdhsa_dx10_clamp 1
		.amdhsa_ieee_mode 1
		.amdhsa_fp16_overflow 0
		.amdhsa_exception_fp_ieee_invalid_op 0
		.amdhsa_exception_fp_denorm_src 0
		.amdhsa_exception_fp_ieee_div_zero 0
		.amdhsa_exception_fp_ieee_overflow 0
		.amdhsa_exception_fp_ieee_underflow 0
		.amdhsa_exception_fp_ieee_inexact 0
		.amdhsa_exception_int_div_zero 0
	.end_amdhsa_kernel
	.text
.Lfunc_end0:
	.size	fft_rtc_back_len1452_factors_11_3_11_4_wgs_132_tpt_132_halfLds_sp_op_CI_CI_unitstride_sbrr_C2R_dirReg, .Lfunc_end0-fft_rtc_back_len1452_factors_11_3_11_4_wgs_132_tpt_132_halfLds_sp_op_CI_CI_unitstride_sbrr_C2R_dirReg
                                        ; -- End function
	.section	.AMDGPU.csdata,"",@progbits
; Kernel info:
; codeLenInByte = 9520
; NumSgprs: 32
; NumVgprs: 61
; ScratchSize: 0
; MemoryBound: 0
; FloatMode: 240
; IeeeMode: 1
; LDSByteSize: 0 bytes/workgroup (compile time only)
; SGPRBlocks: 3
; VGPRBlocks: 15
; NumSGPRsForWavesPerEU: 32
; NumVGPRsForWavesPerEU: 61
; Occupancy: 4
; WaveLimiterHint : 1
; COMPUTE_PGM_RSRC2:SCRATCH_EN: 0
; COMPUTE_PGM_RSRC2:USER_SGPR: 6
; COMPUTE_PGM_RSRC2:TRAP_HANDLER: 0
; COMPUTE_PGM_RSRC2:TGID_X_EN: 1
; COMPUTE_PGM_RSRC2:TGID_Y_EN: 0
; COMPUTE_PGM_RSRC2:TGID_Z_EN: 0
; COMPUTE_PGM_RSRC2:TIDIG_COMP_CNT: 0
	.type	__hip_cuid_1686da371f8c139f,@object ; @__hip_cuid_1686da371f8c139f
	.section	.bss,"aw",@nobits
	.globl	__hip_cuid_1686da371f8c139f
__hip_cuid_1686da371f8c139f:
	.byte	0                               ; 0x0
	.size	__hip_cuid_1686da371f8c139f, 1

	.ident	"AMD clang version 19.0.0git (https://github.com/RadeonOpenCompute/llvm-project roc-6.4.0 25133 c7fe45cf4b819c5991fe208aaa96edf142730f1d)"
	.section	".note.GNU-stack","",@progbits
	.addrsig
	.addrsig_sym __hip_cuid_1686da371f8c139f
	.amdgpu_metadata
---
amdhsa.kernels:
  - .args:
      - .actual_access:  read_only
        .address_space:  global
        .offset:         0
        .size:           8
        .value_kind:     global_buffer
      - .offset:         8
        .size:           8
        .value_kind:     by_value
      - .actual_access:  read_only
        .address_space:  global
        .offset:         16
        .size:           8
        .value_kind:     global_buffer
      - .actual_access:  read_only
        .address_space:  global
        .offset:         24
        .size:           8
        .value_kind:     global_buffer
      - .actual_access:  read_only
        .address_space:  global
        .offset:         32
        .size:           8
        .value_kind:     global_buffer
      - .offset:         40
        .size:           8
        .value_kind:     by_value
      - .actual_access:  read_only
        .address_space:  global
        .offset:         48
        .size:           8
        .value_kind:     global_buffer
      - .actual_access:  read_only
        .address_space:  global
        .offset:         56
        .size:           8
        .value_kind:     global_buffer
      - .offset:         64
        .size:           4
        .value_kind:     by_value
      - .actual_access:  read_only
        .address_space:  global
        .offset:         72
        .size:           8
        .value_kind:     global_buffer
      - .actual_access:  read_only
        .address_space:  global
        .offset:         80
        .size:           8
        .value_kind:     global_buffer
      - .actual_access:  read_only
        .address_space:  global
        .offset:         88
        .size:           8
        .value_kind:     global_buffer
      - .actual_access:  write_only
        .address_space:  global
        .offset:         96
        .size:           8
        .value_kind:     global_buffer
    .group_segment_fixed_size: 0
    .kernarg_segment_align: 8
    .kernarg_segment_size: 104
    .language:       OpenCL C
    .language_version:
      - 2
      - 0
    .max_flat_workgroup_size: 132
    .name:           fft_rtc_back_len1452_factors_11_3_11_4_wgs_132_tpt_132_halfLds_sp_op_CI_CI_unitstride_sbrr_C2R_dirReg
    .private_segment_fixed_size: 0
    .sgpr_count:     32
    .sgpr_spill_count: 0
    .symbol:         fft_rtc_back_len1452_factors_11_3_11_4_wgs_132_tpt_132_halfLds_sp_op_CI_CI_unitstride_sbrr_C2R_dirReg.kd
    .uniform_work_group_size: 1
    .uses_dynamic_stack: false
    .vgpr_count:     61
    .vgpr_spill_count: 0
    .wavefront_size: 64
amdhsa.target:   amdgcn-amd-amdhsa--gfx906
amdhsa.version:
  - 1
  - 2
...

	.end_amdgpu_metadata
